;; amdgpu-corpus repo=ROCm/rocFFT kind=compiled arch=gfx1201 opt=O3
	.text
	.amdgcn_target "amdgcn-amd-amdhsa--gfx1201"
	.amdhsa_code_object_version 6
	.protected	fft_rtc_fwd_len224_factors_8_7_4_wgs_504_tpt_56_half_ip_CI_sbcc_twdbase8_3step ; -- Begin function fft_rtc_fwd_len224_factors_8_7_4_wgs_504_tpt_56_half_ip_CI_sbcc_twdbase8_3step
	.globl	fft_rtc_fwd_len224_factors_8_7_4_wgs_504_tpt_56_half_ip_CI_sbcc_twdbase8_3step
	.p2align	8
	.type	fft_rtc_fwd_len224_factors_8_7_4_wgs_504_tpt_56_half_ip_CI_sbcc_twdbase8_3step,@function
fft_rtc_fwd_len224_factors_8_7_4_wgs_504_tpt_56_half_ip_CI_sbcc_twdbase8_3step: ; @fft_rtc_fwd_len224_factors_8_7_4_wgs_504_tpt_56_half_ip_CI_sbcc_twdbase8_3step
; %bb.0:
	s_load_b128 s[12:15], s[0:1], 0x18
	s_mov_b32 s21, 0
	s_mov_b32 s2, 0x71c4fc00
	s_movk_i32 s3, 0x7c
	s_mov_b32 s20, s21
	s_mov_b64 s[26:27], 0
	s_add_nc_u64 s[2:3], s[20:21], s[2:3]
	s_delay_alu instid0(SALU_CYCLE_1) | instskip(NEXT) | instid1(SALU_CYCLE_1)
	s_add_co_i32 s3, s3, 0x1c71c6a0
	s_mul_u64 s[4:5], s[2:3], -9
	s_delay_alu instid0(SALU_CYCLE_1)
	s_mul_hi_u32 s7, s2, s5
	s_mul_i32 s6, s2, s5
	s_mul_hi_u32 s20, s2, s4
	s_mul_i32 s9, s3, s4
	s_add_nc_u64 s[6:7], s[20:21], s[6:7]
	s_mul_hi_u32 s8, s3, s4
	s_mul_hi_u32 s10, s3, s5
	s_mul_i32 s4, s3, s5
	s_wait_kmcnt 0x0
	s_load_b64 s[18:19], s[12:13], 0x8
	s_add_co_u32 s5, s6, s9
	s_add_co_ci_u32 s20, s7, s8
	s_add_co_ci_u32 s5, s10, 0
	s_delay_alu instid0(SALU_CYCLE_1) | instskip(NEXT) | instid1(SALU_CYCLE_1)
	s_add_nc_u64 s[4:5], s[20:21], s[4:5]
	v_add_co_u32 v1, s2, s2, s4
	s_delay_alu instid0(VALU_DEP_1) | instskip(SKIP_1) | instid1(VALU_DEP_1)
	s_cmp_lg_u32 s2, 0
	s_add_co_ci_u32 s6, s3, s5
	v_readfirstlane_b32 s7, v1
	s_wait_kmcnt 0x0
	s_add_nc_u64 s[2:3], s[18:19], -1
	s_wait_alu 0xfffe
	s_mul_hi_u32 s5, s2, s6
	s_mul_i32 s4, s2, s6
	s_mul_hi_u32 s20, s2, s7
	s_mul_hi_u32 s9, s3, s7
	s_mul_i32 s7, s3, s7
	s_wait_alu 0xfffe
	s_add_nc_u64 s[4:5], s[20:21], s[4:5]
	s_mul_hi_u32 s8, s3, s6
	s_wait_alu 0xfffe
	s_add_co_u32 s4, s4, s7
	s_add_co_ci_u32 s20, s5, s9
	s_mul_i32 s6, s3, s6
	s_add_co_ci_u32 s7, s8, 0
	s_delay_alu instid0(SALU_CYCLE_1) | instskip(SKIP_3) | instid1(SALU_CYCLE_1)
	s_add_nc_u64 s[4:5], s[20:21], s[6:7]
	s_mov_b32 s20, ttmp9
	s_wait_alu 0xfffe
	s_mul_u64 s[6:7], s[4:5], 9
	v_sub_co_u32 v1, s2, s2, s6
	s_delay_alu instid0(VALU_DEP_1) | instskip(SKIP_1) | instid1(VALU_DEP_1)
	s_cmp_lg_u32 s2, 0
	s_sub_co_ci_u32 s8, s3, s7
	v_sub_co_u32 v2, s6, v1, 9
	s_delay_alu instid0(VALU_DEP_1) | instskip(SKIP_2) | instid1(VALU_DEP_2)
	s_cmp_lg_u32 s6, 0
	v_readfirstlane_b32 s10, v1
	s_sub_co_ci_u32 s6, s8, 0
	v_readfirstlane_b32 s2, v2
	s_delay_alu instid0(VALU_DEP_1)
	s_cmp_gt_u32 s2, 8
	s_add_nc_u64 s[2:3], s[4:5], 1
	s_cselect_b32 s9, -1, 0
	s_wait_alu 0xfffe
	s_cmp_eq_u32 s6, 0
	s_add_nc_u64 s[6:7], s[4:5], 2
	s_cselect_b32 s9, s9, -1
	s_delay_alu instid0(SALU_CYCLE_1)
	s_cmp_lg_u32 s9, 0
	s_wait_alu 0xfffe
	s_cselect_b32 s2, s6, s2
	s_cselect_b32 s3, s7, s3
	s_cmp_gt_u32 s10, 8
	s_cselect_b32 s6, -1, 0
	s_cmp_eq_u32 s8, 0
	s_wait_alu 0xfffe
	s_cselect_b32 s6, s6, -1
	s_wait_alu 0xfffe
	s_cmp_lg_u32 s6, 0
	s_cselect_b32 s3, s3, s5
	s_cselect_b32 s2, s2, s4
	s_wait_alu 0xfffe
	s_add_nc_u64 s[22:23], s[2:3], 1
	s_delay_alu instid0(SALU_CYCLE_1) | instskip(NEXT) | instid1(VALU_DEP_1)
	v_cmp_lt_u64_e64 s2, s[20:21], s[22:23]
	s_and_b32 vcc_lo, exec_lo, s2
	s_cbranch_vccnz .LBB0_2
; %bb.1:
	v_cvt_f32_u32_e32 v1, s22
	s_sub_co_i32 s3, 0, s22
	s_mov_b32 s27, s21
	s_delay_alu instid0(VALU_DEP_1) | instskip(NEXT) | instid1(TRANS32_DEP_1)
	v_rcp_iflag_f32_e32 v1, v1
	v_mul_f32_e32 v1, 0x4f7ffffe, v1
	s_delay_alu instid0(VALU_DEP_1) | instskip(NEXT) | instid1(VALU_DEP_1)
	v_cvt_u32_f32_e32 v1, v1
	v_readfirstlane_b32 s2, v1
	s_wait_alu 0xfffe
	s_delay_alu instid0(VALU_DEP_1)
	s_mul_i32 s3, s3, s2
	s_wait_alu 0xfffe
	s_mul_hi_u32 s3, s2, s3
	s_wait_alu 0xfffe
	s_add_co_i32 s2, s2, s3
	s_wait_alu 0xfffe
	s_mul_hi_u32 s2, s20, s2
	s_wait_alu 0xfffe
	s_mul_i32 s3, s2, s22
	s_add_co_i32 s4, s2, 1
	s_wait_alu 0xfffe
	s_sub_co_i32 s3, s20, s3
	s_wait_alu 0xfffe
	s_sub_co_i32 s5, s3, s22
	s_cmp_ge_u32 s3, s22
	s_cselect_b32 s2, s4, s2
	s_wait_alu 0xfffe
	s_cselect_b32 s3, s5, s3
	s_add_co_i32 s4, s2, 1
	s_wait_alu 0xfffe
	s_cmp_ge_u32 s3, s22
	s_cselect_b32 s26, s4, s2
.LBB0_2:
	s_load_b128 s[8:11], s[0:1], 0x8
	s_load_b128 s[4:7], s[14:15], 0x0
	s_load_b64 s[2:3], s[0:1], 0x0
	s_mul_u64 s[16:17], s[26:27], s[22:23]
	s_delay_alu instid0(SALU_CYCLE_1) | instskip(NEXT) | instid1(SALU_CYCLE_1)
	s_sub_nc_u64 s[16:17], s[20:21], s[16:17]
	s_mul_u64 s[16:17], s[16:17], 9
	s_wait_kmcnt 0x0
	v_cmp_lt_u64_e64 s24, s[10:11], 3
	s_delay_alu instid0(VALU_DEP_1)
	s_and_b32 vcc_lo, exec_lo, s24
	s_mul_u64 s[24:25], s[6:7], s[16:17]
	s_cbranch_vccnz .LBB0_12
; %bb.3:
	s_add_nc_u64 s[28:29], s[14:15], 16
	s_add_nc_u64 s[12:13], s[12:13], 16
	s_mov_b64 s[30:31], 2
	s_mov_b32 s34, 0
.LBB0_4:                                ; =>This Inner Loop Header: Depth=1
	s_load_b64 s[36:37], s[12:13], 0x0
                                        ; implicit-def: $sgpr40_sgpr41
	s_wait_kmcnt 0x0
	s_or_b64 s[38:39], s[26:27], s[36:37]
	s_delay_alu instid0(SALU_CYCLE_1)
	s_mov_b32 s35, s39
	s_mov_b32 s39, -1
	s_cmp_lg_u64 s[34:35], 0
	s_cbranch_scc0 .LBB0_6
; %bb.5:                                ;   in Loop: Header=BB0_4 Depth=1
	s_cvt_f32_u32 s33, s36
	s_cvt_f32_u32 s35, s37
	s_sub_nc_u64 s[42:43], 0, s[36:37]
	s_mov_b32 s39, 0
	s_mov_b32 s47, s34
	s_wait_alu 0xfffe
	s_fmamk_f32 s33, s35, 0x4f800000, s33
	s_wait_alu 0xfffe
	s_delay_alu instid0(SALU_CYCLE_2) | instskip(NEXT) | instid1(TRANS32_DEP_1)
	v_s_rcp_f32 s33, s33
	s_mul_f32 s33, s33, 0x5f7ffffc
	s_wait_alu 0xfffe
	s_delay_alu instid0(SALU_CYCLE_2) | instskip(NEXT) | instid1(SALU_CYCLE_3)
	s_mul_f32 s35, s33, 0x2f800000
	s_trunc_f32 s35, s35
	s_delay_alu instid0(SALU_CYCLE_3) | instskip(SKIP_2) | instid1(SALU_CYCLE_1)
	s_fmamk_f32 s33, s35, 0xcf800000, s33
	s_cvt_u32_f32 s41, s35
	s_wait_alu 0xfffe
	s_cvt_u32_f32 s40, s33
	s_wait_alu 0xfffe
	s_delay_alu instid0(SALU_CYCLE_2)
	s_mul_u64 s[44:45], s[42:43], s[40:41]
	s_wait_alu 0xfffe
	s_mul_hi_u32 s49, s40, s45
	s_mul_i32 s48, s40, s45
	s_mul_hi_u32 s38, s40, s44
	s_mul_i32 s35, s41, s44
	s_add_nc_u64 s[48:49], s[38:39], s[48:49]
	s_mul_hi_u32 s33, s41, s44
	s_mul_hi_u32 s50, s41, s45
	s_add_co_u32 s35, s48, s35
	s_wait_alu 0xfffe
	s_add_co_ci_u32 s46, s49, s33
	s_mul_i32 s44, s41, s45
	s_add_co_ci_u32 s45, s50, 0
	s_wait_alu 0xfffe
	s_add_nc_u64 s[44:45], s[46:47], s[44:45]
	s_wait_alu 0xfffe
	v_add_co_u32 v1, s33, s40, s44
	s_delay_alu instid0(VALU_DEP_1) | instskip(SKIP_1) | instid1(VALU_DEP_1)
	s_cmp_lg_u32 s33, 0
	s_add_co_ci_u32 s41, s41, s45
	v_readfirstlane_b32 s40, v1
	s_mov_b32 s45, s34
	s_wait_alu 0xfffe
	s_delay_alu instid0(VALU_DEP_1)
	s_mul_u64 s[42:43], s[42:43], s[40:41]
	s_wait_alu 0xfffe
	s_mul_hi_u32 s47, s40, s43
	s_mul_i32 s46, s40, s43
	s_mul_hi_u32 s38, s40, s42
	s_mul_i32 s35, s41, s42
	s_add_nc_u64 s[46:47], s[38:39], s[46:47]
	s_mul_hi_u32 s33, s41, s42
	s_mul_hi_u32 s40, s41, s43
	s_add_co_u32 s35, s46, s35
	s_wait_alu 0xfffe
	s_add_co_ci_u32 s44, s47, s33
	s_mul_i32 s42, s41, s43
	s_add_co_ci_u32 s43, s40, 0
	s_wait_alu 0xfffe
	s_add_nc_u64 s[42:43], s[44:45], s[42:43]
	s_wait_alu 0xfffe
	v_add_co_u32 v1, s33, v1, s42
	s_delay_alu instid0(VALU_DEP_1) | instskip(SKIP_1) | instid1(VALU_DEP_1)
	s_cmp_lg_u32 s33, 0
	s_add_co_ci_u32 s33, s41, s43
	v_readfirstlane_b32 s35, v1
	s_wait_alu 0xfffe
	s_mul_hi_u32 s41, s26, s33
	s_mul_i32 s40, s26, s33
	s_mul_hi_u32 s43, s27, s33
	s_mul_i32 s42, s27, s33
	;; [unrolled: 2-line block ×3, first 2 shown]
	s_wait_alu 0xfffe
	s_add_nc_u64 s[40:41], s[38:39], s[40:41]
	s_mul_hi_u32 s35, s27, s35
	s_wait_alu 0xfffe
	s_add_co_u32 s33, s40, s33
	s_add_co_ci_u32 s44, s41, s35
	s_add_co_ci_u32 s43, s43, 0
	s_wait_alu 0xfffe
	s_add_nc_u64 s[40:41], s[44:45], s[42:43]
	s_wait_alu 0xfffe
	s_mul_u64 s[42:43], s[36:37], s[40:41]
	s_add_nc_u64 s[44:45], s[40:41], 1
	s_wait_alu 0xfffe
	v_sub_co_u32 v1, s33, s26, s42
	s_sub_co_i32 s35, s27, s43
	s_cmp_lg_u32 s33, 0
	s_add_nc_u64 s[46:47], s[40:41], 2
	s_delay_alu instid0(VALU_DEP_1) | instskip(SKIP_2) | instid1(VALU_DEP_1)
	v_sub_co_u32 v2, s38, v1, s36
	s_sub_co_ci_u32 s35, s35, s37
	s_cmp_lg_u32 s38, 0
	v_readfirstlane_b32 s38, v2
	s_sub_co_ci_u32 s35, s35, 0
	s_delay_alu instid0(SALU_CYCLE_1) | instskip(SKIP_1) | instid1(VALU_DEP_1)
	s_cmp_ge_u32 s35, s37
	s_cselect_b32 s42, -1, 0
	s_cmp_ge_u32 s38, s36
	s_cselect_b32 s38, -1, 0
	s_cmp_eq_u32 s35, s37
	s_wait_alu 0xfffe
	s_cselect_b32 s35, s38, s42
	s_delay_alu instid0(SALU_CYCLE_1)
	s_cmp_lg_u32 s35, 0
	s_cselect_b32 s35, s46, s44
	s_cselect_b32 s38, s47, s45
	s_cmp_lg_u32 s33, 0
	v_readfirstlane_b32 s33, v1
	s_sub_co_ci_u32 s42, s27, s43
	s_wait_alu 0xfffe
	s_cmp_ge_u32 s42, s37
	s_cselect_b32 s43, -1, 0
	s_cmp_ge_u32 s33, s36
	s_cselect_b32 s33, -1, 0
	s_cmp_eq_u32 s42, s37
	s_wait_alu 0xfffe
	s_cselect_b32 s33, s33, s43
	s_wait_alu 0xfffe
	s_cmp_lg_u32 s33, 0
	s_cselect_b32 s41, s38, s41
	s_cselect_b32 s40, s35, s40
.LBB0_6:                                ;   in Loop: Header=BB0_4 Depth=1
	s_and_not1_b32 vcc_lo, exec_lo, s39
	s_cbranch_vccnz .LBB0_8
; %bb.7:                                ;   in Loop: Header=BB0_4 Depth=1
	v_cvt_f32_u32_e32 v1, s36
	s_sub_co_i32 s35, 0, s36
	s_mov_b32 s41, s34
	s_delay_alu instid0(VALU_DEP_1) | instskip(NEXT) | instid1(TRANS32_DEP_1)
	v_rcp_iflag_f32_e32 v1, v1
	v_mul_f32_e32 v1, 0x4f7ffffe, v1
	s_delay_alu instid0(VALU_DEP_1) | instskip(NEXT) | instid1(VALU_DEP_1)
	v_cvt_u32_f32_e32 v1, v1
	v_readfirstlane_b32 s33, v1
	s_delay_alu instid0(VALU_DEP_1) | instskip(NEXT) | instid1(SALU_CYCLE_1)
	s_mul_i32 s35, s35, s33
	s_mul_hi_u32 s35, s33, s35
	s_delay_alu instid0(SALU_CYCLE_1)
	s_add_co_i32 s33, s33, s35
	s_wait_alu 0xfffe
	s_mul_hi_u32 s33, s26, s33
	s_wait_alu 0xfffe
	s_mul_i32 s35, s33, s36
	s_add_co_i32 s38, s33, 1
	s_sub_co_i32 s35, s26, s35
	s_delay_alu instid0(SALU_CYCLE_1)
	s_sub_co_i32 s39, s35, s36
	s_cmp_ge_u32 s35, s36
	s_cselect_b32 s33, s38, s33
	s_cselect_b32 s35, s39, s35
	s_wait_alu 0xfffe
	s_add_co_i32 s38, s33, 1
	s_cmp_ge_u32 s35, s36
	s_cselect_b32 s40, s38, s33
.LBB0_8:                                ;   in Loop: Header=BB0_4 Depth=1
	s_load_b64 s[38:39], s[28:29], 0x0
	s_add_nc_u64 s[30:31], s[30:31], 1
	s_mul_u64 s[22:23], s[36:37], s[22:23]
	s_wait_alu 0xfffe
	v_cmp_ge_u64_e64 s33, s[30:31], s[10:11]
	s_mul_u64 s[36:37], s[40:41], s[36:37]
	s_add_nc_u64 s[28:29], s[28:29], 8
	s_wait_alu 0xfffe
	s_sub_nc_u64 s[26:27], s[26:27], s[36:37]
	s_add_nc_u64 s[12:13], s[12:13], 8
	s_and_b32 vcc_lo, exec_lo, s33
	s_wait_kmcnt 0x0
	s_wait_alu 0xfffe
	s_mul_u64 s[26:27], s[38:39], s[26:27]
	s_wait_alu 0xfffe
	s_add_nc_u64 s[24:25], s[26:27], s[24:25]
	s_cbranch_vccnz .LBB0_10
; %bb.9:                                ;   in Loop: Header=BB0_4 Depth=1
	s_mov_b64 s[26:27], s[40:41]
	s_branch .LBB0_4
.LBB0_10:
	v_cmp_lt_u64_e64 s12, s[20:21], s[22:23]
	s_mov_b64 s[26:27], 0
	s_delay_alu instid0(VALU_DEP_1)
	s_and_b32 vcc_lo, exec_lo, s12
	s_cbranch_vccnz .LBB0_12
; %bb.11:
	v_cvt_f32_u32_e32 v1, s22
	s_sub_co_i32 s13, 0, s22
	s_mov_b32 s27, 0
	s_delay_alu instid0(VALU_DEP_1) | instskip(NEXT) | instid1(TRANS32_DEP_1)
	v_rcp_iflag_f32_e32 v1, v1
	v_mul_f32_e32 v1, 0x4f7ffffe, v1
	s_delay_alu instid0(VALU_DEP_1) | instskip(NEXT) | instid1(VALU_DEP_1)
	v_cvt_u32_f32_e32 v1, v1
	v_readfirstlane_b32 s12, v1
	s_delay_alu instid0(VALU_DEP_1) | instskip(NEXT) | instid1(SALU_CYCLE_1)
	s_mul_i32 s13, s13, s12
	s_mul_hi_u32 s13, s12, s13
	s_delay_alu instid0(SALU_CYCLE_1) | instskip(NEXT) | instid1(SALU_CYCLE_1)
	s_add_co_i32 s12, s12, s13
	s_mul_hi_u32 s12, s20, s12
	s_delay_alu instid0(SALU_CYCLE_1) | instskip(NEXT) | instid1(SALU_CYCLE_1)
	s_mul_i32 s13, s12, s22
	s_sub_co_i32 s13, s20, s13
	s_add_co_i32 s20, s12, 1
	s_sub_co_i32 s21, s13, s22
	s_cmp_ge_u32 s13, s22
	s_wait_alu 0xfffe
	s_cselect_b32 s12, s20, s12
	s_cselect_b32 s13, s21, s13
	s_add_co_i32 s20, s12, 1
	s_cmp_ge_u32 s13, s22
	s_wait_alu 0xfffe
	s_cselect_b32 s26, s20, s12
.LBB0_12:
	v_mul_u32_u24_e32 v1, 0x1c72, v0
	s_lshl_b64 s[10:11], s[10:11], 3
	s_load_b64 s[0:1], s[0:1], 0x58
	s_add_nc_u64 s[10:11], s[14:15], s[10:11]
	s_add_nc_u64 s[12:13], s[16:17], 9
	v_lshrrev_b32_e32 v6, 16, v1
	s_load_b64 s[10:11], s[10:11], 0x0
	v_cmp_le_u64_e64 s13, s[12:13], s[18:19]
	s_mov_b32 s12, 0
	s_delay_alu instid0(VALU_DEP_2)
	v_mul_lo_u16 v1, v6, 9
	v_lshlrev_b32_e32 v12, 2, v6
	v_add_nc_u32_e32 v8, 56, v6
	v_add_nc_u32_e32 v9, 0x70, v6
	;; [unrolled: 1-line block ×3, first 2 shown]
	v_sub_nc_u16 v1, v0, v1
	s_delay_alu instid0(VALU_DEP_1) | instskip(NEXT) | instid1(VALU_DEP_1)
	v_and_b32_e32 v10, 0xffff, v1
	v_add_co_u32 v1, s14, s16, v10
	s_delay_alu instid0(VALU_DEP_1)
	v_add_co_ci_u32_e64 v2, null, s17, 0, s14
	v_mul_u32_u24_e32 v11, 0x380, v10
	s_wait_kmcnt 0x0
	s_mul_u64 s[10:11], s[10:11], s[26:27]
	s_wait_alu 0xfffe
	s_add_nc_u64 s[10:11], s[10:11], s[24:25]
	v_cmp_gt_u64_e32 vcc_lo, s[18:19], v[1:2]
	s_or_b32 s14, s13, vcc_lo
	s_wait_alu 0xfffe
	s_and_saveexec_b32 s13, s14
	s_cbranch_execz .LBB0_14
; %bb.13:
	v_mad_co_u64_u32 v[1:2], null, s6, v10, 0
	v_mad_co_u64_u32 v[3:4], null, s4, v6, 0
	;; [unrolled: 1-line block ×4, first 2 shown]
	s_lshl_b64 s[18:19], s[10:11], 2
	s_delay_alu instid0(VALU_DEP_3)
	v_mad_co_u64_u32 v[15:16], null, s7, v10, v[2:3]
	v_mad_co_u64_u32 v[16:17], null, s4, v9, 0
	v_mov_b32_e32 v2, v4
	v_mov_b32_e32 v4, v14
	s_wait_alu 0xfffe
	s_add_nc_u64 s[18:19], s[0:1], s[18:19]
	s_delay_alu instid0(VALU_DEP_2) | instskip(SKIP_3) | instid1(VALU_DEP_3)
	v_mad_co_u64_u32 v[20:21], null, s5, v6, v[2:3]
	v_mov_b32_e32 v2, v15
	v_mad_co_u64_u32 v[14:15], null, s5, v8, v[4:5]
	v_dual_mov_b32 v4, v17 :: v_dual_mov_b32 v5, v19
	v_lshlrev_b64_e32 v[1:2], 2, v[1:2]
	s_delay_alu instid0(VALU_DEP_2) | instskip(SKIP_2) | instid1(VALU_DEP_3)
	v_mad_co_u64_u32 v[21:22], null, s5, v9, v[4:5]
	v_mov_b32_e32 v4, v20
	s_wait_alu 0xfffe
	v_add_co_u32 v20, vcc_lo, s18, v1
	s_delay_alu instid0(VALU_DEP_4) | instskip(NEXT) | instid1(VALU_DEP_3)
	v_add_co_ci_u32_e32 v22, vcc_lo, s19, v2, vcc_lo
	v_lshlrev_b64_e32 v[1:2], 2, v[3:4]
	v_mad_co_u64_u32 v[3:4], null, s5, v7, v[5:6]
	v_mov_b32_e32 v17, v21
	v_lshlrev_b64_e32 v[4:5], 2, v[13:14]
	s_delay_alu instid0(VALU_DEP_4) | instskip(NEXT) | instid1(VALU_DEP_3)
	v_add_co_u32 v1, vcc_lo, v20, v1
	v_lshlrev_b64_e32 v[13:14], 2, v[16:17]
	v_mov_b32_e32 v19, v3
	s_wait_alu 0xfffd
	v_add_co_ci_u32_e32 v2, vcc_lo, v22, v2, vcc_lo
	v_add_co_u32 v3, vcc_lo, v20, v4
	s_delay_alu instid0(VALU_DEP_3)
	v_lshlrev_b64_e32 v[15:16], 2, v[18:19]
	s_wait_alu 0xfffd
	v_add_co_ci_u32_e32 v4, vcc_lo, v22, v5, vcc_lo
	v_add_co_u32 v13, vcc_lo, v20, v13
	s_wait_alu 0xfffd
	v_add_co_ci_u32_e32 v14, vcc_lo, v22, v14, vcc_lo
	v_add_co_u32 v15, vcc_lo, v20, v15
	s_wait_alu 0xfffd
	v_add_co_ci_u32_e32 v16, vcc_lo, v22, v16, vcc_lo
	s_clause 0x3
	global_load_b32 v1, v[1:2], off
	global_load_b32 v2, v[3:4], off
	;; [unrolled: 1-line block ×4, first 2 shown]
	v_add3_u32 v5, 0, v11, v12
	s_wait_loadcnt 0x2
	ds_store_2addr_b32 v5, v1, v2 offset1:56
	s_wait_loadcnt 0x0
	ds_store_2addr_b32 v5, v3, v4 offset0:112 offset1:168
.LBB0_14:
	s_wait_alu 0xfffe
	s_or_b32 exec_lo, exec_lo, s13
	s_mov_b32 s18, 0x71c4fc00
	s_movk_i32 s19, 0x7c
	s_mov_b32 s13, s12
	v_and_b32_e32 v1, 0xffff, v0
	s_wait_alu 0xfffe
	s_add_nc_u64 s[18:19], s[12:13], s[18:19]
	s_mov_b32 s25, s12
	s_wait_alu 0xfffe
	s_add_co_i32 s19, s19, 0x1c71c6a0
	global_wb scope:SCOPE_SE
	s_wait_dscnt 0x0
	s_wait_alu 0xfffe
	s_mul_u64 s[20:21], s[18:19], -9
	v_mul_u32_u24_e32 v1, 0x493, v1
	s_wait_alu 0xfffe
	s_mul_hi_u32 s23, s18, s21
	s_mul_i32 s22, s18, s21
	s_mul_hi_u32 s24, s18, s20
	s_mul_i32 s15, s19, s20
	s_wait_alu 0xfffe
	s_add_nc_u64 s[22:23], s[24:25], s[22:23]
	s_mul_hi_u32 s13, s19, s20
	s_mul_hi_u32 s24, s19, s21
	s_wait_alu 0xfffe
	s_add_co_u32 s15, s22, s15
	s_add_co_ci_u32 s20, s23, s13
	s_add_co_ci_u32 s23, s24, 0
	s_mul_i32 s22, s19, s21
	s_mov_b32 s21, s12
	v_lshrrev_b32_e32 v5, 16, v1
	s_wait_alu 0xfffe
	s_add_nc_u64 s[12:13], s[20:21], s[22:23]
	s_barrier_signal -1
	s_wait_alu 0xfffe
	v_add_co_u32 v3, s12, s18, s12
	s_delay_alu instid0(VALU_DEP_1) | instskip(SKIP_4) | instid1(VALU_DEP_2)
	s_cmp_lg_u32 s12, 0
	v_add_co_u32 v14, s12, s16, v5
	s_wait_alu 0xf1ff
	v_add_co_ci_u32_e64 v13, null, s17, 0, s12
	s_add_co_ci_u32 s12, s19, s13
	v_mul_hi_u32 v15, v14, v3
	s_wait_alu 0xfffe
	v_mad_co_u64_u32 v[1:2], null, v14, s12, 0
	v_mad_co_u64_u32 v[3:4], null, v13, v3, 0
	v_mul_lo_u16 v5, v5, 56
	s_barrier_wait -1
	global_inv scope:SCOPE_SE
	v_add_co_u32 v15, vcc_lo, v15, v1
	s_wait_alu 0xfffd
	v_add_co_ci_u32_e32 v16, vcc_lo, 0, v2, vcc_lo
	v_mad_co_u64_u32 v[1:2], null, v13, s12, 0
	s_delay_alu instid0(VALU_DEP_3) | instskip(SKIP_1) | instid1(VALU_DEP_3)
	v_add_co_u32 v3, vcc_lo, v15, v3
	s_wait_alu 0xfffd
	v_add_co_ci_u32_e32 v3, vcc_lo, v16, v4, vcc_lo
	v_sub_nc_u16 v25, v0, v5
	s_mov_b32 s12, exec_lo
	s_wait_alu 0xfffd
	s_delay_alu instid0(VALU_DEP_4) | instskip(SKIP_3) | instid1(VALU_DEP_3)
	v_add_co_ci_u32_e32 v2, vcc_lo, 0, v2, vcc_lo
	v_add_co_u32 v1, vcc_lo, v3, v1
	v_and_b32_e32 v16, 0xffff, v25
	s_wait_alu 0xfffd
	v_add_co_ci_u32_e32 v3, vcc_lo, 0, v2, vcc_lo
	s_delay_alu instid0(VALU_DEP_3) | instskip(NEXT) | instid1(VALU_DEP_1)
	v_mad_co_u64_u32 v[1:2], null, v1, 9, 0
	v_mad_co_u64_u32 v[2:3], null, v3, 9, v[2:3]
	s_delay_alu instid0(VALU_DEP_2) | instskip(SKIP_1) | instid1(VALU_DEP_2)
	v_sub_co_u32 v1, vcc_lo, v14, v1
	s_wait_alu 0xfffd
	v_sub_co_ci_u32_e32 v2, vcc_lo, v13, v2, vcc_lo
	s_delay_alu instid0(VALU_DEP_2) | instskip(SKIP_1) | instid1(VALU_DEP_2)
	v_sub_co_u32 v3, vcc_lo, v1, 9
	s_wait_alu 0xfffd
	v_subrev_co_ci_u32_e32 v4, vcc_lo, 0, v2, vcc_lo
	s_delay_alu instid0(VALU_DEP_2)
	v_cmp_lt_u32_e32 vcc_lo, 8, v3
	s_wait_alu 0xfffd
	v_cndmask_b32_e64 v13, 0, -1, vcc_lo
	v_cmp_lt_u32_e32 vcc_lo, 8, v1
	s_wait_alu 0xfffd
	v_cndmask_b32_e64 v15, 0, -1, vcc_lo
	v_cmp_eq_u32_e32 vcc_lo, 0, v4
	s_wait_alu 0xfffd
	v_cndmask_b32_e32 v4, -1, v13, vcc_lo
	v_cmp_eq_u32_e32 vcc_lo, 0, v2
	v_add_nc_u32_e32 v13, -9, v3
	s_wait_alu 0xfffd
	v_cndmask_b32_e32 v0, -1, v15, vcc_lo
	v_cmp_ne_u32_e32 vcc_lo, 0, v4
	s_wait_alu 0xfffd
	v_cndmask_b32_e32 v2, v3, v13, vcc_lo
	s_delay_alu instid0(VALU_DEP_3) | instskip(SKIP_1) | instid1(VALU_DEP_2)
	v_cmp_ne_u32_e32 vcc_lo, 0, v0
	s_wait_alu 0xfffd
	v_cndmask_b32_e32 v0, v1, v2, vcc_lo
	v_lshlrev_b32_e32 v2, 2, v16
	s_delay_alu instid0(VALU_DEP_2) | instskip(NEXT) | instid1(VALU_DEP_2)
	v_mul_u32_u24_e32 v0, 0xe0, v0
	v_add_nc_u32_e32 v1, 0, v2
	s_delay_alu instid0(VALU_DEP_2) | instskip(NEXT) | instid1(VALU_DEP_1)
	v_lshlrev_b32_e32 v18, 2, v0
	v_add_nc_u32_e32 v13, v1, v18
	v_add3_u32 v15, 0, v18, v2
	ds_load_2addr_b32 v[2:3], v13 offset0:28 offset1:56
	ds_load_2addr_b32 v[4:5], v13 offset0:84 offset1:112
	ds_load_b32 v0, v15
	ds_load_2addr_b32 v[19:20], v13 offset0:140 offset1:168
	ds_load_b32 v17, v13 offset:784
	global_wb scope:SCOPE_SE
	s_wait_dscnt 0x0
	s_barrier_signal -1
	s_barrier_wait -1
	global_inv scope:SCOPE_SE
	v_pk_add_f16 v5, v0, v5 neg_lo:[0,1] neg_hi:[0,1]
	v_pk_add_f16 v20, v3, v20 neg_lo:[0,1] neg_hi:[0,1]
	;; [unrolled: 1-line block ×4, first 2 shown]
	s_delay_alu instid0(VALU_DEP_4) | instskip(NEXT) | instid1(VALU_DEP_4)
	v_pk_fma_f16 v21, v0, 2.0, v5 op_sel_hi:[1,0,1] neg_lo:[0,0,1] neg_hi:[0,0,1]
	v_lshrrev_b32_e32 v0, 16, v20
	s_delay_alu instid0(VALU_DEP_4) | instskip(NEXT) | instid1(VALU_DEP_4)
	v_lshrrev_b32_e32 v22, 16, v17
	v_lshrrev_b32_e32 v23, 16, v19
	v_pk_fma_f16 v3, v3, 2.0, v20 op_sel_hi:[1,0,1] neg_lo:[0,0,1] neg_hi:[0,0,1]
	v_pk_fma_f16 v2, v2, 2.0, v19 op_sel_hi:[1,0,1] neg_lo:[0,0,1] neg_hi:[0,0,1]
	v_sub_f16_e32 v24, v5, v0
	v_sub_f16_e32 v22, v19, v22
	v_pk_fma_f16 v0, v4, 2.0, v17 op_sel_hi:[1,0,1] neg_lo:[0,0,1] neg_hi:[0,0,1]
	v_lshrrev_b32_e32 v4, 16, v5
	v_add_f16_e32 v17, v23, v17
	v_fma_f16 v5, v5, 2.0, -v24
	v_fma_f16 v26, v19, 2.0, -v22
	v_pk_add_f16 v27, v21, v3 neg_lo:[0,1] neg_hi:[0,1]
	v_add_f16_e32 v28, v4, v20
	v_pk_add_f16 v20, v2, v0 neg_lo:[0,1] neg_hi:[0,1]
	v_fma_f16 v3, v23, 2.0, -v17
	v_fmamk_f16 v0, v26, 0xb9a8, v5
	v_pk_fma_f16 v29, v21, 2.0, v27 op_sel_hi:[1,0,1] neg_lo:[0,0,1] neg_hi:[0,0,1]
	v_fma_f16 v30, v4, 2.0, -v28
	v_add_f16_e32 v4, v5, v5
	v_pk_fma_f16 v2, v2, 2.0, v20 op_sel_hi:[1,0,1] neg_lo:[0,0,1] neg_hi:[0,0,1]
	v_fmac_f16_e32 v0, 0xb9a8, v3
	v_alignbit_b32 v32, s0, v27, 16
	v_fmamk_f16 v19, v3, 0xb9a8, v30
	v_pack_b32_f16 v4, v4, v27
	v_fmamk_f16 v5, v22, 0x39a8, v24
	v_bfi_b32 v21, 0xffff, v0, v20
	v_fmamk_f16 v23, v17, 0x39a8, v28
	v_fmac_f16_e32 v19, 0x39a8, v26
	v_lshrrev_b32_e32 v31, 16, v27
	v_pk_add_f16 v3, v29, v2 neg_lo:[0,1] neg_hi:[0,1]
	v_pk_add_f16 v21, v4, v21 neg_lo:[0,1] neg_hi:[0,1]
	v_pk_add_f16 v4, v32, v20
	v_pack_b32_f16 v26, v30, v27
	v_fmac_f16_e32 v5, 0xb9a8, v17
	v_fmac_f16_e32 v23, 0x39a8, v22
	v_bfi_b32 v27, 0xffff, v19, v21
	v_pk_fma_f16 v17, v29, 2.0, v3 op_sel_hi:[1,0,1] neg_lo:[0,0,1] neg_hi:[0,0,1]
	v_fma_f16 v20, v31, 2.0, -v4
	v_fma_f16 v2, v24, 2.0, -v5
	;; [unrolled: 1-line block ×3, first 2 shown]
	v_pk_fma_f16 v24, v26, 2.0, v27 op_sel_hi:[1,0,1] neg_lo:[0,0,1] neg_hi:[0,0,1]
	v_cmpx_gt_u16_e32 28, v25
	s_cbranch_execz .LBB0_16
; %bb.15:
	v_mul_u32_u24_e32 v25, 28, v16
	s_delay_alu instid0(VALU_DEP_3)
	v_perm_b32 v26, v24, v21, 0x5040100
	v_alignbit_b32 v27, v20, v24, 16
	v_perm_b32 v28, v22, v2, 0x5040100
	v_alignbit_b32 v29, v4, v21, 16
	v_add3_u32 v1, v1, v25, v18
	v_perm_b32 v25, v19, v0, 0x5040100
	v_perm_b32 v5, v23, v5, 0x5040100
	ds_store_2addr_b32 v1, v26, v27 offset0:1 offset1:2
	ds_store_2addr_b32 v1, v28, v3 offset0:3 offset1:4
	ds_store_2addr_b32 v1, v25, v29 offset0:5 offset1:6
	ds_store_2addr_b32 v1, v17, v5 offset1:7
.LBB0_16:
	s_wait_alu 0xfffe
	s_or_b32 exec_lo, exec_lo, s12
	v_cmp_gt_u16_e32 vcc_lo, 32, v16
	v_perm_b32 v1, v4, v24, 0x5040100
	v_lshrrev_b32_e32 v5, 16, v24
	global_wb scope:SCOPE_SE
	s_wait_dscnt 0x0
	s_barrier_signal -1
	s_barrier_wait -1
	global_inv scope:SCOPE_SE
	s_and_saveexec_b32 s12, vcc_lo
	s_cbranch_execz .LBB0_18
; %bb.17:
	ds_load_2addr_b32 v[4:5], v13 offset0:32 offset1:64
	ds_load_2addr_b32 v[2:3], v13 offset0:96 offset1:128
	;; [unrolled: 1-line block ×3, first 2 shown]
	ds_load_b32 v17, v15
	s_wait_dscnt 0x3
	v_lshrrev_b32_e32 v20, 16, v5
	s_wait_dscnt 0x2
	v_lshrrev_b32_e32 v22, 16, v2
	;; [unrolled: 2-line block ×3, first 2 shown]
	v_perm_b32 v21, v1, v4, 0x5040100
	v_perm_b32 v1, v1, v4, 0x7060302
.LBB0_18:
	s_wait_alu 0xfffe
	s_or_b32 exec_lo, exec_lo, s12
	global_wb scope:SCOPE_SE
	s_wait_dscnt 0x0
	s_barrier_signal -1
	s_barrier_wait -1
	global_inv scope:SCOPE_SE
	s_and_saveexec_b32 s12, vcc_lo
	s_cbranch_execz .LBB0_20
; %bb.19:
	v_and_b32_e32 v4, 7, v16
	v_lshrrev_b32_e32 v29, 3, v16
	v_lshrrev_b32_e32 v30, 16, v1
	v_alignbit_b32 v31, s0, v3, 16
	s_delay_alu instid0(VALU_DEP_4) | instskip(NEXT) | instid1(VALU_DEP_4)
	v_mul_u32_u24_e32 v23, 6, v4
	v_mul_u32_u24_e32 v29, 56, v29
	s_delay_alu instid0(VALU_DEP_2) | instskip(NEXT) | instid1(VALU_DEP_2)
	v_lshlrev_b32_e32 v27, 2, v23
	v_or_b32_e32 v4, v29, v4
	v_lshrrev_b32_e32 v29, 16, v21
	s_clause 0x1
	global_load_b128 v[23:26], v27, s[2:3]
	global_load_b64 v[27:28], v27, s[2:3] offset:16
	v_lshlrev_b32_e32 v4, 2, v4
	s_delay_alu instid0(VALU_DEP_1)
	v_add3_u32 v4, 0, v4, v18
	s_wait_loadcnt 0x1
	v_lshrrev_b32_e32 v18, 16, v23
	v_lshrrev_b32_e32 v32, 16, v24
	;; [unrolled: 1-line block ×3, first 2 shown]
	s_wait_loadcnt 0x0
	v_lshrrev_b32_e32 v34, 16, v27
	v_lshrrev_b32_e32 v35, 16, v28
	v_pk_mul_f16 v36, v3, v26
	v_perm_b32 v37, v28, v23, 0x7060302
	v_perm_b32 v38, v28, v23, 0x5040100
	v_mul_f16_e32 v39, v22, v25
	v_alignbit_b32 v40, s0, v26, 16
	v_mul_f16_e32 v18, v1, v18
	v_mul_f16_e32 v30, v30, v35
	v_alignbit_b32 v35, s0, v36, 16
	v_mul_f16_e32 v22, v22, v33
	v_mul_f16_e32 v36, v20, v32
	v_mul_f16_e32 v41, v19, v34
	v_pk_mul_f16 v37, v21, v37
	v_pk_mul_f16 v31, v31, v26
	v_mul_f16_e32 v33, v2, v33
	v_pk_mul_f16 v40, v3, v40
	v_mul_f16_e32 v34, v0, v34
	v_mul_f16_e32 v32, v5, v32
	v_fma_f16 v18, v21, v23, -v18
	v_fma_f16 v21, v29, v28, -v30
	v_pk_fma_f16 v3, v3, v26, v35 neg_lo:[0,0,1] neg_hi:[0,0,1]
	v_fma_f16 v2, v2, v25, -v22
	v_fma_f16 v5, v5, v24, -v36
	;; [unrolled: 1-line block ×3, first 2 shown]
	v_pk_fma_f16 v1, v1, v38, v37
	v_fmac_f16_e32 v34, v19, v27
	v_fmac_f16_e32 v32, v20, v24
	v_sub_f16_e32 v19, v18, v21
	v_sub_f16_e32 v20, v3, v2
	;; [unrolled: 1-line block ×3, first 2 shown]
	v_alignbit_b32 v23, s0, v1, 16
	v_pack_b32_f16 v18, v18, v31
	v_pack_b32_f16 v21, v21, v40
	;; [unrolled: 1-line block ×4, first 2 shown]
	v_add_f16_e32 v24, v32, v34
	v_sub_f16_e32 v27, v19, v20
	v_sub_f16_e32 v28, v20, v22
	v_add_f16_e32 v20, v20, v22
	v_pk_add_f16 v23, v1, v23
	v_sub_f16_e32 v22, v22, v19
	v_pk_add_f16 v18, v18, v21
	v_pk_add_f16 v0, v5, v0
	v_lshrrev_b32_e32 v25, 16, v1
	v_pack_b32_f16 v2, v2, v24
	v_mul_f16_e32 v5, 0xb846, v28
	v_add_f16_e32 v19, v20, v19
	v_mul_f16_e32 v20, 0x3b00, v22
	v_pk_add_f16 v28, v0, v18
	v_pack_b32_f16 v3, v3, v23
	v_sub_f16_e32 v26, v32, v34
	v_sub_f16_e32 v1, v1, v25
	v_lshrrev_b32_e32 v29, 16, v0
	v_lshrrev_b32_e32 v30, 16, v18
	v_fmamk_f16 v32, v27, 0x3574, v5
	v_fma_f16 v20, v27, 0xb574, -v20
	v_fma_f16 v5, v22, 0x3b00, -v5
	v_lshrrev_b32_e32 v22, 16, v28
	v_pk_add_f16 v2, v2, v3
	v_sub_f16_e32 v21, v24, v23
	v_sub_f16_e32 v25, v26, v1
	;; [unrolled: 1-line block ×3, first 2 shown]
	v_fmac_f16_e32 v32, 0x370e, v19
	v_fmac_f16_e32 v20, 0x370e, v19
	;; [unrolled: 1-line block ×3, first 2 shown]
	v_sub_f16_e32 v19, v23, v22
	v_pk_add_f16 v23, v28, v2
	v_sub_f16_e32 v31, v0, v18
	v_mul_f16_e32 v27, 0x3b00, v25
	v_sub_f16_e32 v22, v22, v24
	v_sub_f16_e32 v18, v18, v2
	;; [unrolled: 1-line block ×5, first 2 shown]
	v_add_f16_e32 v3, v3, v26
	v_pk_add_f16 v17, v17, v23
	v_mul_f16_e32 v19, 0x3a52, v19
	v_lshrrev_b32_e32 v28, 16, v23
	v_mul_f16_e32 v18, 0x3a52, v18
	v_mul_f16_e32 v24, 0xb846, v24
	v_add_f16_e32 v1, v3, v1
	v_fma_f16 v3, v2, 0xb574, -v27
	v_lshrrev_b32_e32 v27, 16, v17
	v_mul_f16_e32 v26, 0x2b26, v22
	v_mul_f16_e32 v29, 0x2b26, v0
	v_fmamk_f16 v22, v22, 0x2b26, v19
	v_fmamk_f16 v0, v0, 0x2b26, v18
	;; [unrolled: 1-line block ×4, first 2 shown]
	v_fma_f16 v18, v31, 0xb9e0, -v18
	v_fmac_f16_e32 v27, 0xbcab, v28
	v_fma_f16 v19, v21, 0xb9e0, -v19
	v_fma_f16 v21, v21, 0x39e0, -v26
	;; [unrolled: 1-line block ×4, first 2 shown]
	v_fmac_f16_e32 v3, 0x370e, v1
	v_add_f16_e32 v0, v0, v23
	v_fmac_f16_e32 v2, 0x370e, v1
	v_add_f16_e32 v18, v18, v23
	v_add_f16_e32 v22, v22, v27
	v_fmac_f16_e32 v24, 0x370e, v1
	v_add_f16_e32 v1, v25, v23
	v_add_f16_e32 v19, v19, v27
	;; [unrolled: 1-line block ×3, first 2 shown]
	v_sub_f16_e32 v23, v0, v2
	v_sub_f16_e32 v25, v18, v3
	v_add_f16_e32 v3, v3, v18
	v_add_f16_e32 v0, v2, v0
	v_sub_f16_e32 v18, v22, v32
	v_add_f16_e32 v26, v24, v1
	v_sub_f16_e32 v1, v1, v24
	;; [unrolled: 2-line block ×4, first 2 shown]
	v_add_f16_e32 v19, v20, v19
	v_pack_b32_f16 v0, v0, v18
	v_pack_b32_f16 v3, v3, v22
	;; [unrolled: 1-line block ×6, first 2 shown]
	ds_store_2addr_b32 v4, v17, v0 offset1:8
	ds_store_2addr_b32 v4, v3, v1 offset0:16 offset1:24
	ds_store_2addr_b32 v4, v5, v18 offset0:32 offset1:40
	ds_store_b32 v4, v2 offset:192
.LBB0_20:
	s_wait_alu 0xfffe
	s_or_b32 exec_lo, exec_lo, s12
	v_mul_lo_u32 v0, v14, v16
	v_add_nc_u32_e32 v4, 0x70, v16
	v_add_nc_u32_e32 v2, 56, v16
	v_mul_u32_u24_e32 v1, 3, v16
	v_add_nc_u32_e32 v16, 0xa8, v16
	global_wb scope:SCOPE_SE
	s_wait_dscnt 0x0
	v_mul_lo_u32 v4, v14, v4
	v_mul_lo_u32 v5, v14, v2
	v_lshlrev_b32_e32 v1, 2, v1
	v_and_b32_e32 v3, 0xff, v0
	v_lshrrev_b32_e32 v17, 6, v0
	v_lshrrev_b32_e32 v18, 14, v0
	v_mul_lo_u32 v14, v14, v16
	s_barrier_signal -1
	s_barrier_wait -1
	global_inv scope:SCOPE_SE
	global_load_b96 v[0:2], v1, s[2:3] offset:192
	v_lshlrev_b32_e32 v3, 2, v3
	v_and_b32_e32 v21, 0xff, v4
	v_and_b32_e32 v17, 0x3fc, v17
	;; [unrolled: 1-line block ×4, first 2 shown]
	v_lshrrev_b32_e32 v20, 6, v5
	v_lshrrev_b32_e32 v5, 14, v5
	v_lshlrev_b32_e32 v16, 2, v21
	v_lshrrev_b32_e32 v21, 6, v4
	s_clause 0x2
	global_load_b32 v22, v3, s[8:9]
	global_load_b32 v17, v17, s[8:9] offset:1024
	global_load_b32 v18, v18, s[8:9] offset:2048
	v_and_b32_e32 v3, 0xff, v14
	v_lshrrev_b32_e32 v23, 6, v14
	v_lshrrev_b32_e32 v14, 14, v14
	v_lshlrev_b32_e32 v19, 2, v19
	v_lshrrev_b32_e32 v4, 14, v4
	v_and_b32_e32 v20, 0x3fc, v20
	v_and_b32_e32 v5, 0x3fc, v5
	;; [unrolled: 1-line block ×6, first 2 shown]
	v_lshlrev_b32_e32 v3, 2, v3
	s_clause 0x8
	global_load_b32 v19, v19, s[8:9]
	global_load_b32 v20, v20, s[8:9] offset:1024
	global_load_b32 v5, v5, s[8:9] offset:2048
	global_load_b32 v16, v16, s[8:9]
	global_load_b32 v21, v21, s[8:9] offset:1024
	global_load_b32 v24, v4, s[8:9] offset:2048
	;; [unrolled: 3-line block ×3, first 2 shown]
	ds_load_2addr_b32 v[3:4], v13 offset0:56 offset1:112
	ds_load_b32 v26, v13 offset:672
	ds_load_b32 v15, v15
	global_wb scope:SCOPE_SE
	s_wait_loadcnt_dscnt 0x0
	s_barrier_signal -1
	s_barrier_wait -1
	global_inv scope:SCOPE_SE
	v_lshrrev_b32_e32 v27, 16, v3
	v_lshrrev_b32_e32 v28, 16, v4
	;; [unrolled: 1-line block ×7, first 2 shown]
	s_delay_alu instid0(VALU_DEP_3) | instskip(SKIP_1) | instid1(VALU_DEP_4)
	v_mul_f16_e32 v34, v29, v27
	v_mul_f16_e32 v29, v29, v3
	;; [unrolled: 1-line block ×6, first 2 shown]
	v_lshrrev_b32_e32 v37, 16, v22
	v_lshrrev_b32_e32 v38, 16, v17
	v_fma_f16 v3, v0, v3, -v34
	v_fmac_f16_e32 v29, v0, v27
	v_fma_f16 v0, v1, v4, -v35
	v_fmac_f16_e32 v31, v1, v28
	;; [unrolled: 2-line block ×3, first 2 shown]
	v_mul_f16_e32 v2, v37, v38
	v_mul_f16_e32 v4, v22, v38
	v_lshrrev_b32_e32 v26, 16, v19
	v_lshrrev_b32_e32 v27, 16, v20
	;; [unrolled: 1-line block ×7, first 2 shown]
	v_sub_f16_e32 v0, v15, v0
	v_sub_f16_e32 v31, v32, v31
	;; [unrolled: 1-line block ×4, first 2 shown]
	v_fma_f16 v2, v22, v17, -v2
	v_fmac_f16_e32 v4, v37, v17
	v_mul_f16_e32 v17, v26, v27
	v_mul_f16_e32 v22, v19, v27
	;; [unrolled: 1-line block ×4, first 2 shown]
	v_lshrrev_b32_e32 v28, 16, v5
	v_mul_f16_e32 v34, v16, v34
	v_mul_f16_e32 v38, v25, v38
	v_fma_f16 v15, v15, 2.0, -v0
	v_fma_f16 v32, v32, 2.0, -v31
	;; [unrolled: 1-line block ×4, first 2 shown]
	v_mul_f16_e32 v41, v4, v39
	v_mul_f16_e32 v39, v2, v39
	v_fma_f16 v17, v19, v20, -v17
	v_lshrrev_b32_e32 v35, 16, v24
	v_lshrrev_b32_e32 v40, 16, v14
	v_fma_f16 v16, v16, v21, -v27
	v_fma_f16 v19, v25, v23, -v37
	v_sub_f16_e32 v33, v0, v33
	v_add_f16_e32 v1, v31, v1
	v_fmac_f16_e32 v22, v26, v20
	v_fmac_f16_e32 v34, v30, v21
	;; [unrolled: 1-line block ×3, first 2 shown]
	v_sub_f16_e32 v3, v15, v3
	v_sub_f16_e32 v20, v32, v29
	v_fma_f16 v2, v18, v2, -v41
	v_fmac_f16_e32 v39, v18, v4
	v_mul_f16_e32 v18, v17, v28
	v_mul_f16_e32 v25, v16, v35
	;; [unrolled: 1-line block ×3, first 2 shown]
	v_fma_f16 v0, v0, 2.0, -v33
	v_fma_f16 v21, v31, 2.0, -v1
	v_mul_f16_e32 v4, v22, v28
	v_mul_f16_e32 v23, v34, v35
	;; [unrolled: 1-line block ×3, first 2 shown]
	v_fma_f16 v15, v15, 2.0, -v3
	v_fma_f16 v28, v32, 2.0, -v20
	v_fmac_f16_e32 v18, v5, v22
	v_fmac_f16_e32 v25, v24, v34
	;; [unrolled: 1-line block ×3, first 2 shown]
	v_fma_f16 v4, v5, v17, -v4
	v_fma_f16 v5, v24, v16, -v23
	;; [unrolled: 1-line block ×3, first 2 shown]
	v_mul_f16_e32 v14, v28, v39
	v_mul_f16_e32 v17, v15, v39
	;; [unrolled: 1-line block ×8, first 2 shown]
	v_fma_f16 v14, v15, v2, -v14
	v_fmac_f16_e32 v17, v28, v2
	v_fma_f16 v0, v0, v4, -v19
	v_fmac_f16_e32 v18, v21, v4
	v_fma_f16 v2, v3, v5, -v22
	v_fmac_f16_e32 v23, v20, v5
	v_fma_f16 v3, v33, v16, -v24
	v_fmac_f16_e32 v25, v1, v16
	v_pack_b32_f16 v1, v14, v17
	v_pack_b32_f16 v0, v0, v18
	;; [unrolled: 1-line block ×3, first 2 shown]
	s_delay_alu instid0(VALU_DEP_4)
	v_pack_b32_f16 v3, v3, v25
	ds_store_2addr_b32 v13, v1, v0 offset1:56
	ds_store_2addr_b32 v13, v2, v3 offset0:112 offset1:168
	global_wb scope:SCOPE_SE
	s_wait_dscnt 0x0
	s_barrier_signal -1
	s_barrier_wait -1
	global_inv scope:SCOPE_SE
	s_and_saveexec_b32 s2, s14
	s_cbranch_execz .LBB0_22
; %bb.21:
	v_mad_co_u64_u32 v[0:1], null, s6, v10, 0
	v_mad_co_u64_u32 v[2:3], null, s4, v6, 0
	v_add3_u32 v18, 0, v11, v12
	v_mad_co_u64_u32 v[4:5], null, s4, v8, 0
	v_mad_co_u64_u32 v[13:14], null, s4, v7, 0
	s_lshl_b64 s[2:3], s[10:11], 2
	s_delay_alu instid0(VALU_DEP_4) | instskip(SKIP_1) | instid1(VALU_DEP_4)
	v_mad_co_u64_u32 v[10:11], null, s7, v10, v[1:2]
	v_mad_co_u64_u32 v[11:12], null, s4, v9, 0
	;; [unrolled: 1-line block ×4, first 2 shown]
	s_delay_alu instid0(VALU_DEP_4) | instskip(SKIP_2) | instid1(VALU_DEP_4)
	v_mov_b32_e32 v1, v10
	s_wait_alu 0xfffe
	s_add_nc_u64 s[0:1], s[0:1], s[2:3]
	v_mov_b32_e32 v3, v12
	ds_load_2addr_b32 v[16:17], v18 offset1:56
	v_lshlrev_b64_e32 v[0:1], 2, v[0:1]
	v_mad_co_u64_u32 v[8:9], null, s5, v9, v[3:4]
	v_mov_b32_e32 v3, v15
	s_wait_alu 0xfffe
	s_delay_alu instid0(VALU_DEP_3)
	v_add_co_u32 v15, vcc_lo, s0, v0
	s_wait_alu 0xfffd
	v_add_co_ci_u32_e32 v19, vcc_lo, s1, v1, vcc_lo
	v_lshlrev_b64_e32 v[1:2], 2, v[2:3]
	v_mov_b32_e32 v0, v14
	v_mov_b32_e32 v12, v8
	s_delay_alu instid0(VALU_DEP_2)
	v_mad_co_u64_u32 v[6:7], null, s5, v7, v[0:1]
	v_add_co_u32 v0, vcc_lo, v15, v1
	s_wait_alu 0xfffd
	v_add_co_ci_u32_e32 v1, vcc_lo, v19, v2, vcc_lo
	v_lshlrev_b64_e32 v[2:3], 2, v[4:5]
	ds_load_2addr_b32 v[4:5], v18 offset0:112 offset1:168
	v_mov_b32_e32 v14, v6
	v_lshlrev_b64_e32 v[7:8], 2, v[11:12]
	v_add_co_u32 v2, vcc_lo, v15, v2
	s_delay_alu instid0(VALU_DEP_3) | instskip(SKIP_2) | instid1(VALU_DEP_4)
	v_lshlrev_b64_e32 v[9:10], 2, v[13:14]
	s_wait_alu 0xfffd
	v_add_co_ci_u32_e32 v3, vcc_lo, v19, v3, vcc_lo
	v_add_co_u32 v6, vcc_lo, v15, v7
	s_wait_alu 0xfffd
	v_add_co_ci_u32_e32 v7, vcc_lo, v19, v8, vcc_lo
	v_add_co_u32 v8, vcc_lo, v15, v9
	s_wait_alu 0xfffd
	v_add_co_ci_u32_e32 v9, vcc_lo, v19, v10, vcc_lo
	s_wait_dscnt 0x1
	s_clause 0x1
	global_store_b32 v[0:1], v16, off
	global_store_b32 v[2:3], v17, off
	s_wait_dscnt 0x0
	s_clause 0x1
	global_store_b32 v[6:7], v4, off
	global_store_b32 v[8:9], v5, off
.LBB0_22:
	s_nop 0
	s_sendmsg sendmsg(MSG_DEALLOC_VGPRS)
	s_endpgm
	.section	.rodata,"a",@progbits
	.p2align	6, 0x0
	.amdhsa_kernel fft_rtc_fwd_len224_factors_8_7_4_wgs_504_tpt_56_half_ip_CI_sbcc_twdbase8_3step
		.amdhsa_group_segment_fixed_size 0
		.amdhsa_private_segment_fixed_size 0
		.amdhsa_kernarg_size 96
		.amdhsa_user_sgpr_count 2
		.amdhsa_user_sgpr_dispatch_ptr 0
		.amdhsa_user_sgpr_queue_ptr 0
		.amdhsa_user_sgpr_kernarg_segment_ptr 1
		.amdhsa_user_sgpr_dispatch_id 0
		.amdhsa_user_sgpr_private_segment_size 0
		.amdhsa_wavefront_size32 1
		.amdhsa_uses_dynamic_stack 0
		.amdhsa_enable_private_segment 0
		.amdhsa_system_sgpr_workgroup_id_x 1
		.amdhsa_system_sgpr_workgroup_id_y 0
		.amdhsa_system_sgpr_workgroup_id_z 0
		.amdhsa_system_sgpr_workgroup_info 0
		.amdhsa_system_vgpr_workitem_id 0
		.amdhsa_next_free_vgpr 42
		.amdhsa_next_free_sgpr 51
		.amdhsa_reserve_vcc 1
		.amdhsa_float_round_mode_32 0
		.amdhsa_float_round_mode_16_64 0
		.amdhsa_float_denorm_mode_32 3
		.amdhsa_float_denorm_mode_16_64 3
		.amdhsa_fp16_overflow 0
		.amdhsa_workgroup_processor_mode 1
		.amdhsa_memory_ordered 1
		.amdhsa_forward_progress 0
		.amdhsa_round_robin_scheduling 0
		.amdhsa_exception_fp_ieee_invalid_op 0
		.amdhsa_exception_fp_denorm_src 0
		.amdhsa_exception_fp_ieee_div_zero 0
		.amdhsa_exception_fp_ieee_overflow 0
		.amdhsa_exception_fp_ieee_underflow 0
		.amdhsa_exception_fp_ieee_inexact 0
		.amdhsa_exception_int_div_zero 0
	.end_amdhsa_kernel
	.text
.Lfunc_end0:
	.size	fft_rtc_fwd_len224_factors_8_7_4_wgs_504_tpt_56_half_ip_CI_sbcc_twdbase8_3step, .Lfunc_end0-fft_rtc_fwd_len224_factors_8_7_4_wgs_504_tpt_56_half_ip_CI_sbcc_twdbase8_3step
                                        ; -- End function
	.section	.AMDGPU.csdata,"",@progbits
; Kernel info:
; codeLenInByte = 5652
; NumSgprs: 53
; NumVgprs: 42
; ScratchSize: 0
; MemoryBound: 0
; FloatMode: 240
; IeeeMode: 1
; LDSByteSize: 0 bytes/workgroup (compile time only)
; SGPRBlocks: 6
; VGPRBlocks: 5
; NumSGPRsForWavesPerEU: 53
; NumVGPRsForWavesPerEU: 42
; Occupancy: 16
; WaveLimiterHint : 1
; COMPUTE_PGM_RSRC2:SCRATCH_EN: 0
; COMPUTE_PGM_RSRC2:USER_SGPR: 2
; COMPUTE_PGM_RSRC2:TRAP_HANDLER: 0
; COMPUTE_PGM_RSRC2:TGID_X_EN: 1
; COMPUTE_PGM_RSRC2:TGID_Y_EN: 0
; COMPUTE_PGM_RSRC2:TGID_Z_EN: 0
; COMPUTE_PGM_RSRC2:TIDIG_COMP_CNT: 0
	.text
	.p2alignl 7, 3214868480
	.fill 96, 4, 3214868480
	.type	__hip_cuid_4d7ea72d7502abe1,@object ; @__hip_cuid_4d7ea72d7502abe1
	.section	.bss,"aw",@nobits
	.globl	__hip_cuid_4d7ea72d7502abe1
__hip_cuid_4d7ea72d7502abe1:
	.byte	0                               ; 0x0
	.size	__hip_cuid_4d7ea72d7502abe1, 1

	.ident	"AMD clang version 19.0.0git (https://github.com/RadeonOpenCompute/llvm-project roc-6.4.0 25133 c7fe45cf4b819c5991fe208aaa96edf142730f1d)"
	.section	".note.GNU-stack","",@progbits
	.addrsig
	.addrsig_sym __hip_cuid_4d7ea72d7502abe1
	.amdgpu_metadata
---
amdhsa.kernels:
  - .args:
      - .actual_access:  read_only
        .address_space:  global
        .offset:         0
        .size:           8
        .value_kind:     global_buffer
      - .address_space:  global
        .offset:         8
        .size:           8
        .value_kind:     global_buffer
      - .offset:         16
        .size:           8
        .value_kind:     by_value
      - .actual_access:  read_only
        .address_space:  global
        .offset:         24
        .size:           8
        .value_kind:     global_buffer
      - .actual_access:  read_only
        .address_space:  global
        .offset:         32
        .size:           8
        .value_kind:     global_buffer
      - .offset:         40
        .size:           8
        .value_kind:     by_value
      - .actual_access:  read_only
        .address_space:  global
        .offset:         48
        .size:           8
        .value_kind:     global_buffer
      - .actual_access:  read_only
        .address_space:  global
        .offset:         56
        .size:           8
        .value_kind:     global_buffer
      - .offset:         64
        .size:           4
        .value_kind:     by_value
      - .actual_access:  read_only
        .address_space:  global
        .offset:         72
        .size:           8
        .value_kind:     global_buffer
      - .actual_access:  read_only
        .address_space:  global
        .offset:         80
        .size:           8
        .value_kind:     global_buffer
      - .address_space:  global
        .offset:         88
        .size:           8
        .value_kind:     global_buffer
    .group_segment_fixed_size: 0
    .kernarg_segment_align: 8
    .kernarg_segment_size: 96
    .language:       OpenCL C
    .language_version:
      - 2
      - 0
    .max_flat_workgroup_size: 504
    .name:           fft_rtc_fwd_len224_factors_8_7_4_wgs_504_tpt_56_half_ip_CI_sbcc_twdbase8_3step
    .private_segment_fixed_size: 0
    .sgpr_count:     53
    .sgpr_spill_count: 0
    .symbol:         fft_rtc_fwd_len224_factors_8_7_4_wgs_504_tpt_56_half_ip_CI_sbcc_twdbase8_3step.kd
    .uniform_work_group_size: 1
    .uses_dynamic_stack: false
    .vgpr_count:     42
    .vgpr_spill_count: 0
    .wavefront_size: 32
    .workgroup_processor_mode: 1
amdhsa.target:   amdgcn-amd-amdhsa--gfx1201
amdhsa.version:
  - 1
  - 2
...

	.end_amdgpu_metadata
